;; amdgpu-corpus repo=ROCm/rocFFT kind=compiled arch=gfx950 opt=O3
	.text
	.amdgcn_target "amdgcn-amd-amdhsa--gfx950"
	.amdhsa_code_object_version 6
	.protected	fft_rtc_fwd_len192_factors_4_3_16_wgs_256_tpt_16_dim3_sp_ip_CI_sbcc_twdbase8_2step_dirReg_intrinsicReadWrite ; -- Begin function fft_rtc_fwd_len192_factors_4_3_16_wgs_256_tpt_16_dim3_sp_ip_CI_sbcc_twdbase8_2step_dirReg_intrinsicReadWrite
	.globl	fft_rtc_fwd_len192_factors_4_3_16_wgs_256_tpt_16_dim3_sp_ip_CI_sbcc_twdbase8_2step_dirReg_intrinsicReadWrite
	.p2align	8
	.type	fft_rtc_fwd_len192_factors_4_3_16_wgs_256_tpt_16_dim3_sp_ip_CI_sbcc_twdbase8_2step_dirReg_intrinsicReadWrite,@function
fft_rtc_fwd_len192_factors_4_3_16_wgs_256_tpt_16_dim3_sp_ip_CI_sbcc_twdbase8_2step_dirReg_intrinsicReadWrite: ; @fft_rtc_fwd_len192_factors_4_3_16_wgs_256_tpt_16_dim3_sp_ip_CI_sbcc_twdbase8_2step_dirReg_intrinsicReadWrite
; %bb.0:
	s_load_dwordx4 s[4:7], s[0:1], 0x10
	s_mov_b32 s3, 0
	s_mov_b64 s[18:19], 0
	s_waitcnt lgkmcnt(0)
	s_load_dwordx2 s[12:13], s[4:5], 0x8
	s_waitcnt lgkmcnt(0)
	s_add_u32 s8, s12, -1
	s_addc_u32 s9, s13, -1
	s_lshr_b64 s[8:9], s[8:9], 4
	s_add_u32 s16, s8, 1
	s_addc_u32 s17, s9, 0
	v_mov_b64_e32 v[2:3], s[16:17]
	v_cmp_lt_u64_e32 vcc, s[2:3], v[2:3]
	s_cbranch_vccnz .LBB0_2
; %bb.1:
	v_cvt_f32_u32_e32 v1, s16
	s_sub_i32 s8, 0, s16
	s_mov_b32 s19, s3
	v_rcp_iflag_f32_e32 v1, v1
	s_nop 0
	v_mul_f32_e32 v1, 0x4f7ffffe, v1
	v_cvt_u32_f32_e32 v1, v1
	s_nop 0
	v_readfirstlane_b32 s9, v1
	s_mul_i32 s8, s8, s9
	s_mul_hi_u32 s8, s9, s8
	s_add_i32 s9, s9, s8
	s_mul_hi_u32 s8, s2, s9
	s_mul_i32 s10, s8, s16
	s_sub_i32 s10, s2, s10
	s_add_i32 s9, s8, 1
	s_sub_i32 s11, s10, s16
	s_cmp_ge_u32 s10, s16
	s_cselect_b32 s8, s9, s8
	s_cselect_b32 s10, s11, s10
	s_add_i32 s9, s8, 1
	s_cmp_ge_u32 s10, s16
	s_cselect_b32 s18, s9, s8
.LBB0_2:
	s_load_dwordx2 s[10:11], s[4:5], 0x10
	s_load_dwordx2 s[14:15], s[6:7], 0x8
	s_mov_b64 s[4:5], s[18:19]
	s_waitcnt lgkmcnt(0)
	v_mov_b64_e32 v[2:3], s[10:11]
	v_cmp_lt_u64_e32 vcc, s[18:19], v[2:3]
	s_cbranch_vccnz .LBB0_4
; %bb.3:
	v_cvt_f32_u32_e32 v1, s10
	s_sub_i32 s4, 0, s10
	v_rcp_iflag_f32_e32 v1, v1
	s_nop 0
	v_mul_f32_e32 v1, 0x4f7ffffe, v1
	v_cvt_u32_f32_e32 v1, v1
	s_nop 0
	v_readfirstlane_b32 s5, v1
	s_mul_i32 s4, s4, s5
	s_mul_hi_u32 s4, s5, s4
	s_add_i32 s5, s5, s4
	s_mul_hi_u32 s4, s18, s5
	s_mul_i32 s4, s4, s10
	s_sub_i32 s4, s18, s4
	s_sub_i32 s5, s4, s10
	s_cmp_ge_u32 s4, s10
	s_cselect_b32 s4, s5, s4
	s_sub_i32 s5, s4, s10
	s_cmp_ge_u32 s4, s10
	s_cselect_b32 s4, s5, s4
.LBB0_4:
	s_mul_i32 s5, s10, s17
	s_mul_hi_u32 s19, s10, s16
	s_add_i32 s5, s19, s5
	s_mul_i32 s11, s11, s16
	s_load_dwordx2 s[8:9], s[0:1], 0x50
	s_add_i32 s25, s5, s11
	s_mul_i32 s24, s10, s16
	s_load_dwordx2 s[10:11], s[6:7], 0x0
	s_load_dwordx2 s[20:21], s[6:7], 0x10
	v_mov_b64_e32 v[2:3], s[24:25]
	v_cmp_lt_u64_e32 vcc, s[2:3], v[2:3]
	s_mov_b64 s[22:23], 0
	s_cbranch_vccnz .LBB0_6
; %bb.5:
	v_cvt_f32_u32_e32 v1, s24
	s_sub_i32 s3, 0, s24
	v_rcp_iflag_f32_e32 v1, v1
	s_nop 0
	v_mul_f32_e32 v1, 0x4f7ffffe, v1
	v_cvt_u32_f32_e32 v1, v1
	s_nop 0
	v_readfirstlane_b32 s5, v1
	s_mul_i32 s3, s3, s5
	s_mul_hi_u32 s3, s5, s3
	s_add_i32 s5, s5, s3
	s_mul_hi_u32 s3, s2, s5
	s_waitcnt lgkmcnt(0)
	s_mul_i32 s11, s3, s24
	s_sub_i32 s11, s2, s11
	s_add_i32 s5, s3, 1
	s_sub_i32 s19, s11, s24
	s_cmp_ge_u32 s11, s24
	s_cselect_b32 s3, s5, s3
	s_cselect_b32 s11, s19, s11
	s_add_i32 s5, s3, 1
	s_cmp_ge_u32 s11, s24
	s_cselect_b32 s22, s5, s3
.LBB0_6:
	s_mul_i32 s3, s18, s17
	s_mul_hi_u32 s5, s18, s16
	s_add_i32 s5, s5, s3
	s_mul_i32 s3, s18, s16
	s_sub_u32 s2, s2, s3
	s_subb_u32 s3, 0, s5
	v_mov_b32_e32 v1, s2
	s_lshl_b64 s[16:17], s[2:3], 4
	v_alignbit_b32 v1, s3, v1, 28
	v_mul_lo_u32 v1, s14, v1
	s_mul_hi_u32 s2, s14, s16
	v_add_u32_e32 v1, s2, v1
	s_mul_i32 s2, s15, s16
	v_add_u32_e32 v3, s2, v1
	s_mul_i32 s2, s14, s16
	v_mov_b32_e32 v2, s2
	s_load_dwordx2 s[2:3], s[6:7], 0x18
	s_waitcnt lgkmcnt(0)
	s_mul_i32 s5, s21, s4
	s_mul_hi_u32 s6, s20, s4
	s_add_i32 s5, s6, s5
	s_mul_i32 s4, s20, s4
	v_lshl_add_u64 v[2:3], s[4:5], 0, v[2:3]
	s_mul_i32 s3, s3, s22
	s_mul_hi_u32 s4, s2, s22
	s_add_i32 s3, s4, s3
	s_mul_i32 s2, s2, s22
	v_lshl_add_u64 v[42:43], s[2:3], 0, v[2:3]
	s_add_u32 s2, s16, 16
	v_and_b32_e32 v27, 15, v0
	s_addc_u32 s3, s17, 0
	v_mov_b64_e32 v[2:3], s[12:13]
	v_or_b32_e32 v46, s16, v27
	v_mov_b32_e32 v47, s17
	v_cmp_le_u64_e32 vcc, s[2:3], v[2:3]
	v_mad_u64_u32 v[44:45], s[2:3], s14, v27, 0
	v_cmp_gt_u64_e64 s[2:3], s[12:13], v[46:47]
	v_lshrrev_b32_e32 v1, 4, v0
	s_or_b64 s[4:5], vcc, s[2:3]
	v_mov_b32_e32 v2, 0
	v_mov_b32_e32 v4, 0
	;; [unrolled: 1-line block ×3, first 2 shown]
	s_and_saveexec_b64 s[6:7], s[4:5]
	s_cbranch_execz .LBB0_8
; %bb.7:
	v_mul_lo_u32 v3, s10, v1
	v_add3_u32 v4, v42, v44, v3
	v_mov_b32_e32 v5, 0
	v_lshl_add_u64 v[4:5], v[4:5], 3, s[8:9]
	global_load_dwordx2 v[4:5], v[4:5], off
.LBB0_8:
	s_or_b64 exec, exec, s[6:7]
	v_or_b32_e32 v26, 48, v1
	v_mov_b32_e32 v3, 0
	s_and_saveexec_b64 s[6:7], s[4:5]
	s_cbranch_execz .LBB0_10
; %bb.9:
	v_mul_lo_u32 v2, s10, v26
	v_add3_u32 v2, v42, v44, v2
	v_mov_b32_e32 v3, 0
	v_lshl_add_u64 v[2:3], v[2:3], 3, s[8:9]
	global_load_dwordx2 v[2:3], v[2:3], off
.LBB0_10:
	s_or_b64 exec, exec, s[6:7]
	v_mov_b32_e32 v6, 0
	v_mov_b32_e32 v8, 0
	;; [unrolled: 1-line block ×3, first 2 shown]
	s_and_saveexec_b64 s[6:7], s[4:5]
	s_cbranch_execz .LBB0_12
; %bb.11:
	v_or_b32_e32 v7, 0x60, v1
	v_mul_lo_u32 v7, s10, v7
	v_add3_u32 v8, v42, v44, v7
	v_mov_b32_e32 v9, 0
	v_lshl_add_u64 v[8:9], v[8:9], 3, s[8:9]
	global_load_dwordx2 v[8:9], v[8:9], off
.LBB0_12:
	s_or_b64 exec, exec, s[6:7]
	v_mov_b32_e32 v7, 0
	s_and_saveexec_b64 s[6:7], s[4:5]
	s_cbranch_execz .LBB0_14
; %bb.13:
	v_or_b32_e32 v6, 0x90, v1
	v_mul_lo_u32 v6, s10, v6
	v_add3_u32 v6, v42, v44, v6
	v_mov_b32_e32 v7, 0
	v_lshl_add_u64 v[6:7], v[6:7], 3, s[8:9]
	global_load_dwordx2 v[6:7], v[6:7], off
.LBB0_14:
	s_or_b64 exec, exec, s[6:7]
	v_or_b32_e32 v28, 16, v1
	v_mov_b32_e32 v10, 0
	v_mov_b32_e32 v12, 0
	;; [unrolled: 1-line block ×3, first 2 shown]
	s_and_saveexec_b64 s[6:7], s[4:5]
	s_cbranch_execz .LBB0_16
; %bb.15:
	v_mul_lo_u32 v11, s10, v28
	v_add3_u32 v12, v42, v44, v11
	v_mov_b32_e32 v13, 0
	v_lshl_add_u64 v[12:13], v[12:13], 3, s[8:9]
	global_load_dwordx2 v[12:13], v[12:13], off
.LBB0_16:
	s_or_b64 exec, exec, s[6:7]
	v_mov_b32_e32 v11, 0
	s_and_saveexec_b64 s[6:7], s[4:5]
	s_cbranch_execz .LBB0_18
; %bb.17:
	v_or_b32_e32 v10, 64, v1
	v_mul_lo_u32 v10, s10, v10
	v_add3_u32 v10, v42, v44, v10
	v_mov_b32_e32 v11, 0
	v_lshl_add_u64 v[10:11], v[10:11], 3, s[8:9]
	global_load_dwordx2 v[10:11], v[10:11], off
.LBB0_18:
	s_or_b64 exec, exec, s[6:7]
	v_mov_b32_e32 v14, 0
	v_mov_b32_e32 v16, 0
	;; [unrolled: 1-line block ×3, first 2 shown]
	s_and_saveexec_b64 s[6:7], s[4:5]
	s_cbranch_execz .LBB0_20
; %bb.19:
	v_or_b32_e32 v15, 0x70, v1
	v_mul_lo_u32 v15, s10, v15
	v_add3_u32 v16, v42, v44, v15
	v_mov_b32_e32 v17, 0
	v_lshl_add_u64 v[16:17], v[16:17], 3, s[8:9]
	global_load_dwordx2 v[16:17], v[16:17], off
.LBB0_20:
	s_or_b64 exec, exec, s[6:7]
	v_mov_b32_e32 v15, 0
	s_and_saveexec_b64 s[6:7], s[4:5]
	s_cbranch_execz .LBB0_22
; %bb.21:
	v_or_b32_e32 v14, 0xa0, v1
	v_mul_lo_u32 v14, s10, v14
	v_add3_u32 v14, v42, v44, v14
	v_mov_b32_e32 v15, 0
	v_lshl_add_u64 v[14:15], v[14:15], 3, s[8:9]
	global_load_dwordx2 v[14:15], v[14:15], off
.LBB0_22:
	s_or_b64 exec, exec, s[6:7]
	v_or_b32_e32 v29, 32, v1
	v_mov_b32_e32 v18, 0
	v_mov_b32_e32 v20, 0
	;; [unrolled: 1-line block ×3, first 2 shown]
	s_and_saveexec_b64 s[6:7], s[4:5]
	s_cbranch_execz .LBB0_24
; %bb.23:
	v_mul_lo_u32 v19, s10, v29
	v_add3_u32 v20, v42, v44, v19
	v_mov_b32_e32 v21, 0
	v_lshl_add_u64 v[20:21], v[20:21], 3, s[8:9]
	global_load_dwordx2 v[20:21], v[20:21], off
.LBB0_24:
	s_or_b64 exec, exec, s[6:7]
	v_mov_b32_e32 v19, 0
	s_and_saveexec_b64 s[6:7], s[4:5]
	s_cbranch_execz .LBB0_26
; %bb.25:
	v_or_b32_e32 v18, 0x50, v1
	v_mul_lo_u32 v18, s10, v18
	v_add3_u32 v18, v42, v44, v18
	v_mov_b32_e32 v19, 0
	v_lshl_add_u64 v[18:19], v[18:19], 3, s[8:9]
	global_load_dwordx2 v[18:19], v[18:19], off
.LBB0_26:
	s_or_b64 exec, exec, s[6:7]
	s_load_dwordx2 s[12:13], s[0:1], 0x0
	v_mov_b32_e32 v22, 0
	v_mov_b32_e32 v24, 0
	;; [unrolled: 1-line block ×3, first 2 shown]
	s_and_saveexec_b64 s[6:7], s[4:5]
	s_cbranch_execz .LBB0_28
; %bb.27:
	v_or_b32_e32 v23, 0x80, v1
	v_mul_lo_u32 v23, s10, v23
	v_add3_u32 v24, v42, v44, v23
	v_mov_b32_e32 v25, 0
	v_lshl_add_u64 v[24:25], v[24:25], 3, s[8:9]
	global_load_dwordx2 v[24:25], v[24:25], off
.LBB0_28:
	s_or_b64 exec, exec, s[6:7]
	v_mov_b32_e32 v23, 0
	s_and_saveexec_b64 s[6:7], s[4:5]
	s_cbranch_execz .LBB0_30
; %bb.29:
	v_or_b32_e32 v22, 0xb0, v1
	v_mul_lo_u32 v22, s10, v22
	v_add3_u32 v22, v42, v44, v22
	v_mov_b32_e32 v23, 0
	v_lshl_add_u64 v[22:23], v[22:23], 3, s[8:9]
	global_load_dwordx2 v[22:23], v[22:23], off
.LBB0_30:
	s_or_b64 exec, exec, s[6:7]
	s_waitcnt vmcnt(0)
	v_pk_add_f32 v[8:9], v[4:5], v[8:9] neg_lo:[0,1] neg_hi:[0,1]
	v_pk_add_f32 v[6:7], v[2:3], v[6:7] neg_lo:[0,1] neg_hi:[0,1]
	v_lshlrev_b32_e32 v30, 9, v1
	v_lshlrev_b32_e32 v38, 3, v27
	v_add3_u32 v27, 0, v30, v38
	v_pk_fma_f32 v[4:5], v[4:5], 2.0, v[8:9] op_sel_hi:[1,0,1] neg_lo:[0,0,1] neg_hi:[0,0,1]
	v_pk_fma_f32 v[2:3], v[2:3], 2.0, v[6:7] op_sel_hi:[1,0,1] neg_lo:[0,0,1] neg_hi:[0,0,1]
	v_pk_add_f32 v[30:31], v[8:9], v[6:7] op_sel:[0,1] op_sel_hi:[1,0] neg_lo:[0,1] neg_hi:[0,1]
	v_pk_add_f32 v[6:7], v[8:9], v[6:7] op_sel:[0,1] op_sel_hi:[1,0]
	v_pk_add_f32 v[2:3], v[4:5], v[2:3] neg_lo:[0,1] neg_hi:[0,1]
	v_mov_b32_e32 v31, v7
	v_pk_fma_f32 v[4:5], v[4:5], 2.0, v[2:3] op_sel_hi:[1,0,1] neg_lo:[0,0,1] neg_hi:[0,0,1]
	v_pk_fma_f32 v[6:7], v[8:9], 2.0, v[30:31] op_sel_hi:[1,0,1] neg_lo:[0,0,1] neg_hi:[0,0,1]
	v_pk_add_f32 v[16:17], v[12:13], v[16:17] neg_lo:[0,1] neg_hi:[0,1]
	v_pk_add_f32 v[14:15], v[10:11], v[14:15] neg_lo:[0,1] neg_hi:[0,1]
	ds_write2_b64 v27, v[4:5], v[6:7] offset1:16
	ds_write2_b64 v27, v[2:3], v[30:31] offset0:32 offset1:48
	v_lshlrev_b32_e32 v2, 9, v28
	v_add3_u32 v27, 0, v2, v38
	v_pk_fma_f32 v[2:3], v[12:13], 2.0, v[16:17] op_sel_hi:[1,0,1] neg_lo:[0,0,1] neg_hi:[0,0,1]
	v_pk_fma_f32 v[4:5], v[10:11], 2.0, v[14:15] op_sel_hi:[1,0,1] neg_lo:[0,0,1] neg_hi:[0,0,1]
	v_pk_add_f32 v[6:7], v[16:17], v[14:15] op_sel:[0,1] op_sel_hi:[1,0] neg_lo:[0,1] neg_hi:[0,1]
	v_pk_add_f32 v[8:9], v[16:17], v[14:15] op_sel:[0,1] op_sel_hi:[1,0]
	v_pk_add_f32 v[4:5], v[2:3], v[4:5] neg_lo:[0,1] neg_hi:[0,1]
	v_mov_b32_e32 v7, v9
	v_pk_fma_f32 v[2:3], v[2:3], 2.0, v[4:5] op_sel_hi:[1,0,1] neg_lo:[0,0,1] neg_hi:[0,0,1]
	v_pk_fma_f32 v[8:9], v[16:17], 2.0, v[6:7] op_sel_hi:[1,0,1] neg_lo:[0,0,1] neg_hi:[0,0,1]
	v_pk_add_f32 v[24:25], v[20:21], v[24:25] neg_lo:[0,1] neg_hi:[0,1]
	v_pk_add_f32 v[22:23], v[18:19], v[22:23] neg_lo:[0,1] neg_hi:[0,1]
	ds_write2_b64 v27, v[2:3], v[8:9] offset1:16
	ds_write2_b64 v27, v[4:5], v[6:7] offset0:32 offset1:48
	v_lshlrev_b32_e32 v2, 9, v29
	v_add3_u32 v10, 0, v2, v38
	v_pk_fma_f32 v[2:3], v[20:21], 2.0, v[24:25] op_sel_hi:[1,0,1] neg_lo:[0,0,1] neg_hi:[0,0,1]
	v_pk_fma_f32 v[4:5], v[18:19], 2.0, v[22:23] op_sel_hi:[1,0,1] neg_lo:[0,0,1] neg_hi:[0,0,1]
	v_pk_add_f32 v[6:7], v[24:25], v[22:23] op_sel:[0,1] op_sel_hi:[1,0] neg_lo:[0,1] neg_hi:[0,1]
	v_pk_add_f32 v[8:9], v[24:25], v[22:23] op_sel:[0,1] op_sel_hi:[1,0]
	v_pk_add_f32 v[4:5], v[2:3], v[4:5] neg_lo:[0,1] neg_hi:[0,1]
	v_mov_b32_e32 v7, v9
	v_pk_fma_f32 v[2:3], v[2:3], 2.0, v[4:5] op_sel_hi:[1,0,1] neg_lo:[0,0,1] neg_hi:[0,0,1]
	v_pk_fma_f32 v[8:9], v[24:25], 2.0, v[6:7] op_sel_hi:[1,0,1] neg_lo:[0,0,1] neg_hi:[0,0,1]
	v_bfe_u32 v39, v0, 4, 2
	ds_write2_b64 v10, v[2:3], v[8:9] offset1:16
	ds_write2_b64 v10, v[4:5], v[6:7] offset0:32 offset1:48
	v_lshlrev_b32_e32 v2, 4, v39
	s_waitcnt lgkmcnt(0)
	s_barrier
	global_load_dwordx4 v[2:5], v2, s[12:13]
	v_and_b32_e32 v6, 0xf0, v0
	v_lshlrev_b32_e32 v7, 7, v26
	v_lshrrev_b32_e32 v8, 6, v0
	v_lshrrev_b32_e32 v9, 2, v28
	;; [unrolled: 1-line block ×3, first 2 shown]
	v_lshlrev_b32_e32 v6, 3, v6
	v_add3_u32 v31, 0, v7, v38
	v_mul_u32_u24_e32 v7, 12, v8
	v_mul_u32_u24_e32 v8, 12, v9
	v_mul_u32_u24_e32 v9, 12, v11
	v_add3_u32 v30, 0, v6, v38
	v_or_b32_e32 v6, v7, v39
	v_or_b32_e32 v7, v8, v39
	;; [unrolled: 1-line block ×3, first 2 shown]
	s_movk_i32 s4, 0xfe80
	v_lshrrev_b32_e32 v40, 2, v26
	v_lshlrev_b32_e32 v18, 7, v6
	v_lshlrev_b32_e32 v19, 7, v7
	;; [unrolled: 1-line block ×3, first 2 shown]
	v_mad_i32_i24 v20, v28, s4, v27
	v_mad_i32_i24 v21, v29, s4, v10
	ds_read2st64_b64 v[22:25], v30 offset1:16
	ds_read2st64_b64 v[6:9], v30 offset0:28 offset1:32
	ds_read2st64_b64 v[10:13], v30 offset0:20 offset1:24
	;; [unrolled: 1-line block ×3, first 2 shown]
	v_add3_u32 v41, 0, v18, v38
	v_add3_u32 v43, 0, v19, v38
	;; [unrolled: 1-line block ×3, first 2 shown]
	ds_read_b64 v[18:19], v30 offset:22528
	ds_read_b64 v[26:27], v31
	ds_read_b64 v[28:29], v21
	;; [unrolled: 1-line block ×3, first 2 shown]
	s_mov_b32 s4, 0x3f5db3d7
	s_waitcnt lgkmcnt(0)
	s_barrier
	s_movk_i32 s11, 0xc0
                                        ; implicit-def: $vgpr49
	s_waitcnt vmcnt(0)
	v_mov_b32_e32 v20, v5
	v_pk_mul_f32 v[34:35], v[18:19], v[4:5] op_sel:[1,0] op_sel_hi:[0,1]
	v_pk_mul_f32 v[20:21], v[18:19], v[20:21] op_sel:[1,0] op_sel_hi:[0,1]
	v_mov_b32_e32 v35, v34
	v_pk_fma_f32 v[36:37], v[18:19], v[4:5], v[20:21] neg_lo:[0,0,1] neg_hi:[0,0,1]
	v_pk_fma_f32 v[18:19], v[18:19], v[4:5], v[34:35] op_sel:[1,0,0] op_sel_hi:[0,1,1]
	v_mul_u32_u24_e32 v18, 12, v40
	v_or_b32_e32 v18, v18, v39
	v_lshlrev_b32_e32 v18, 7, v18
	v_add3_u32 v40, 0, v18, v38
	v_mov_b32_e32 v37, v19
	v_pk_mul_f32 v[18:19], v[4:5], v[16:17] op_sel:[0,1]
	v_pk_mul_f32 v[20:21], v[2:3], v[6:7] op_sel:[0,1]
	v_pk_fma_f32 v[38:39], v[4:5], v[16:17], v[18:19] op_sel:[0,0,1] op_sel_hi:[1,1,0] neg_lo:[0,0,1] neg_hi:[0,0,1]
	v_pk_fma_f32 v[16:17], v[4:5], v[16:17], v[18:19] op_sel:[0,0,1] op_sel_hi:[1,0,0]
	v_pk_fma_f32 v[34:35], v[2:3], v[6:7], v[20:21] op_sel:[0,0,1] op_sel_hi:[1,1,0] neg_lo:[0,0,1] neg_hi:[0,0,1]
	v_mov_b32_e32 v39, v17
	v_pk_mul_f32 v[16:17], v[2:3], v[12:13] op_sel:[0,1]
	v_pk_fma_f32 v[6:7], v[2:3], v[6:7], v[20:21] op_sel:[0,0,1] op_sel_hi:[1,0,0]
	v_pk_fma_f32 v[18:19], v[2:3], v[12:13], v[16:17] op_sel:[0,0,1] op_sel_hi:[1,1,0] neg_lo:[0,0,1] neg_hi:[0,0,1]
	v_pk_fma_f32 v[12:13], v[2:3], v[12:13], v[16:17] op_sel:[0,0,1] op_sel_hi:[1,0,0]
	v_mov_b32_e32 v35, v7
	v_mov_b32_e32 v19, v13
	v_pk_add_f32 v[12:13], v[28:29], v[18:19]
	v_pk_add_f32 v[6:7], v[26:27], v[34:35]
	;; [unrolled: 1-line block ×5, first 2 shown]
	v_pk_fma_f32 v[16:17], v[12:13], 0.5, v[28:29] op_sel_hi:[1,0,1] neg_lo:[1,0,0] neg_hi:[1,0,0]
	v_pk_add_f32 v[12:13], v[18:19], v[38:39] neg_lo:[0,1] neg_hi:[0,1]
	s_nop 0
	v_pk_mul_f32 v[18:19], v[12:13], s[4:5] op_sel_hi:[1,0]
	s_nop 0
	v_pk_add_f32 v[12:13], v[16:17], v[18:19] op_sel:[0,1] op_sel_hi:[1,0]
	v_pk_add_f32 v[50:51], v[16:17], v[18:19] op_sel:[0,1] op_sel_hi:[1,0] neg_lo:[0,1] neg_hi:[0,1]
	v_pk_mul_f32 v[16:17], v[4:5], v[14:15] op_sel:[0,1]
	s_nop 0
	v_pk_fma_f32 v[18:19], v[4:5], v[14:15], v[16:17] op_sel:[0,0,1] op_sel_hi:[1,1,0] neg_lo:[0,0,1] neg_hi:[0,0,1]
	v_pk_fma_f32 v[14:15], v[4:5], v[14:15], v[16:17] op_sel:[0,0,1] op_sel_hi:[1,0,0]
	s_nop 0
	v_mov_b32_e32 v19, v15
	v_pk_mul_f32 v[14:15], v[2:3], v[10:11] op_sel:[0,1]
	s_nop 0
	v_pk_fma_f32 v[28:29], v[2:3], v[10:11], v[14:15] op_sel:[0,0,1] op_sel_hi:[1,1,0] neg_lo:[0,0,1] neg_hi:[0,0,1]
	v_pk_fma_f32 v[10:11], v[2:3], v[10:11], v[14:15] op_sel:[0,0,1] op_sel_hi:[1,0,0]
	s_nop 0
	v_mov_b32_e32 v29, v11
	v_pk_add_f32 v[10:11], v[32:33], v[28:29]
	v_pk_add_f32 v[14:15], v[28:29], v[18:19] neg_lo:[0,1] neg_hi:[0,1]
	v_pk_add_f32 v[16:17], v[10:11], v[18:19]
	v_pk_add_f32 v[10:11], v[28:29], v[18:19]
	v_pk_mul_f32 v[14:15], v[14:15], s[4:5] op_sel_hi:[1,0]
	v_pk_fma_f32 v[10:11], v[10:11], 0.5, v[32:33] op_sel_hi:[1,0,1] neg_lo:[1,0,0] neg_hi:[1,0,0]
	s_nop 0
	v_pk_add_f32 v[18:19], v[10:11], v[14:15] op_sel:[0,1] op_sel_hi:[1,0]
	v_pk_add_f32 v[10:11], v[10:11], v[14:15] op_sel:[0,1] op_sel_hi:[1,0] neg_lo:[0,1] neg_hi:[0,1]
	v_pk_mul_f32 v[14:15], v[4:5], v[8:9] op_sel:[0,1]
	s_nop 0
	v_pk_fma_f32 v[28:29], v[4:5], v[8:9], v[14:15] op_sel:[0,0,1] op_sel_hi:[1,1,0] neg_lo:[0,0,1] neg_hi:[0,0,1]
	v_pk_fma_f32 v[4:5], v[4:5], v[8:9], v[14:15] op_sel:[0,0,1] op_sel_hi:[1,0,0]
	s_nop 0
	v_mov_b32_e32 v29, v5
	v_pk_mul_f32 v[4:5], v[2:3], v[24:25] op_sel:[0,1]
	s_nop 0
	v_pk_fma_f32 v[8:9], v[2:3], v[24:25], v[4:5] op_sel:[0,0,1] op_sel_hi:[1,1,0] neg_lo:[0,0,1] neg_hi:[0,0,1]
	v_pk_fma_f32 v[2:3], v[2:3], v[24:25], v[4:5] op_sel:[0,0,1] op_sel_hi:[1,0,0]
	s_nop 0
	v_mov_b32_e32 v9, v3
	v_pk_add_f32 v[2:3], v[8:9], v[28:29]
	s_nop 0
	v_pk_fma_f32 v[4:5], v[2:3], 0.5, v[22:23] op_sel_hi:[1,0,1] neg_lo:[1,0,0] neg_hi:[1,0,0]
	v_pk_add_f32 v[2:3], v[8:9], v[28:29] neg_lo:[0,1] neg_hi:[0,1]
	s_nop 0
	v_pk_mul_f32 v[24:25], v[2:3], s[4:5] op_sel_hi:[1,0]
	v_pk_add_f32 v[2:3], v[22:23], v[8:9]
	v_pk_add_f32 v[14:15], v[4:5], v[24:25] op_sel:[0,1] op_sel_hi:[1,0]
	v_pk_add_f32 v[22:23], v[4:5], v[24:25] op_sel:[0,1] op_sel_hi:[1,0] neg_lo:[0,1] neg_hi:[0,1]
	v_pk_add_f32 v[2:3], v[2:3], v[28:29]
	v_mov_b32_e32 v4, v14
	v_mov_b32_e32 v5, v23
	ds_write2st64_b64 v41, v[2:3], v[4:5] offset1:1
	v_mov_b32_e32 v4, v22
	v_mov_b32_e32 v5, v15
	ds_write_b64 v41, v[4:5] offset:1024
	v_mov_b32_e32 v4, v18
	v_mov_b32_e32 v5, v11
	ds_write2st64_b64 v43, v[16:17], v[4:5] offset1:1
	v_mov_b32_e32 v4, v10
	v_mov_b32_e32 v5, v19
	ds_write_b64 v43, v[4:5] offset:1024
	;; [unrolled: 6-line block ×3, first 2 shown]
	v_pk_add_f32 v[4:5], v[34:35], v[36:37]
	v_pk_add_f32 v[8:9], v[34:35], v[36:37] neg_lo:[0,1] neg_hi:[0,1]
	v_pk_fma_f32 v[4:5], v[4:5], 0.5, v[26:27] op_sel_hi:[1,0,1] neg_lo:[1,0,0] neg_hi:[1,0,0]
	v_pk_mul_f32 v[8:9], v[8:9], s[4:5] op_sel_hi:[1,0]
	v_cmp_gt_u32_e64 s[4:5], s11, v0
	v_pk_add_f32 v[52:53], v[4:5], v[8:9] op_sel:[0,1] op_sel_hi:[1,0]
	v_pk_add_f32 v[8:9], v[4:5], v[8:9] op_sel:[0,1] op_sel_hi:[1,0] neg_lo:[0,1] neg_hi:[0,1]
	v_mov_b32_e32 v4, v52
	v_mov_b32_e32 v5, v9
	ds_write2st64_b64 v40, v[6:7], v[4:5] offset1:1
	v_mov_b32_e32 v4, v8
	v_mov_b32_e32 v5, v53
	ds_write_b64 v40, v[4:5] offset:1024
	s_waitcnt lgkmcnt(0)
	s_barrier
	s_waitcnt lgkmcnt(0)
                                        ; implicit-def: $vgpr25
                                        ; implicit-def: $vgpr27
	s_and_saveexec_b64 s[6:7], s[4:5]
	s_cbranch_execz .LBB0_32
; %bb.31:
	ds_read2st64_b64 v[2:5], v30 offset1:3
	ds_read2st64_b64 v[14:17], v30 offset0:6 offset1:9
	ds_read2st64_b64 v[18:21], v30 offset0:15 offset1:18
	;; [unrolled: 1-line block ×6, first 2 shown]
	ds_read_b64 v[32:33], v31
	ds_read_b64 v[48:49], v30 offset:23040
	s_waitcnt lgkmcnt(5)
	v_mov_b32_e32 v50, v12
	s_waitcnt lgkmcnt(4)
	v_mov_b32_e32 v52, v8
	;; [unrolled: 2-line block ×3, first 2 shown]
	v_mov_b32_e32 v8, v22
	v_mov_b32_e32 v51, v11
	v_mov_b32_e32 v12, v10
	v_mov_b32_e32 v10, v18
	s_waitcnt lgkmcnt(1)
	v_mov_b32_e32 v11, v33
	v_mov_b32_e32 v18, v32
	;; [unrolled: 1-line block ×5, first 2 shown]
.LBB0_32:
	s_or_b64 exec, exec, s[6:7]
	s_movk_i32 s4, 0xbf
	v_cmp_lt_u32_e64 s[4:5], s4, v0
	v_cmp_gt_u32_e64 s[6:7], s11, v0
	v_cndmask_b32_e64 v5, 0, 1, s[2:3]
	s_or_b64 vcc, s[4:5], vcc
	v_cndmask_b32_e64 v4, 0, 1, s[6:7]
	v_cndmask_b32_e32 v4, v5, v4, vcc
	v_and_b32_e32 v4, 1, v4
	v_cmp_eq_u32_e32 vcc, 1, v4
	s_and_saveexec_b64 s[2:3], vcc
	s_cbranch_execz .LBB0_34
; %bb.33:
	v_mul_lo_u16_e32 v4, 22, v1
	v_mov_b32_e32 v5, 12
	v_mul_lo_u16_sdwa v4, v4, v5 dst_sel:DWORD dst_unused:UNUSED_PAD src0_sel:BYTE_1 src1_sel:DWORD
	v_sub_u16_e32 v1, v1, v4
	v_and_b32_e32 v1, 0xff, v1
	v_mul_u32_u24_e32 v4, 15, v1
	v_lshlrev_b32_e32 v43, 3, v4
	global_load_dwordx4 v[30:33], v43, s[12:13] offset:160
	global_load_dwordx4 v[38:41], v43, s[12:13] offset:80
	;; [unrolled: 1-line block ×3, first 2 shown]
	v_mov_b32_e32 v58, v29
	v_mov_b32_e32 v4, v27
	;; [unrolled: 1-line block ×6, first 2 shown]
	s_load_dwordx2 s[0:1], s[0:1], 0x8
	global_load_dwordx2 v[54:55], v43, s[12:13] offset:176
	s_movk_i32 s2, 0xc0
	s_mov_b32 s4, 0x3ec3ef15
	s_mov_b32 s6, 0xbf6c835e
	global_load_dwordx4 v[70:73], v43, s[12:13] offset:112
	global_load_dwordx4 v[74:77], v43, s[12:13] offset:128
	s_waitcnt vmcnt(5)
	v_mov_b32_e32 v66, v33
	v_mov_b32_e32 v67, v32
	v_pk_mul_f32 v[58:59], v[58:59], v[66:67] op_sel_hi:[0,1]
	v_pk_mul_f32 v[26:27], v[26:27], v[30:31] op_sel_hi:[0,1]
	v_pk_fma_f32 v[4:5], v[4:5], v[30:31], v[26:27] op_sel:[0,0,1] op_sel_hi:[1,1,0]
	v_pk_fma_f32 v[56:57], v[56:57], v[30:31], v[26:27] op_sel:[0,0,1] op_sel_hi:[0,1,0] neg_lo:[1,0,0] neg_hi:[1,0,0]
	v_pk_fma_f32 v[26:27], v[28:29], v[32:33], v[58:59] neg_lo:[0,0,1] neg_hi:[0,0,1]
	v_pk_fma_f32 v[30:31], v[28:29], v[32:33], v[58:59] op_sel_hi:[0,1,1]
	s_waitcnt vmcnt(4)
	v_pk_mul_f32 v[28:29], v[16:17], v[38:39] op_sel_hi:[0,1]
	v_pk_mul_f32 v[32:33], v[60:61], v[40:41] op_sel_hi:[0,1]
	v_pk_fma_f32 v[16:17], v[62:63], v[38:39], v[28:29] op_sel:[0,0,1] op_sel_hi:[1,1,0]
	global_load_dwordx4 v[60:63], v43, s[12:13] offset:144
	global_load_dwordx4 v[66:69], v43, s[12:13] offset:64
	v_pk_fma_f32 v[58:59], v[64:65], v[38:39], v[28:29] op_sel:[0,0,1] op_sel_hi:[0,1,0] neg_lo:[1,0,0] neg_hi:[1,0,0]
	v_pk_fma_f32 v[28:29], v[18:19], v[40:41], v[32:33] op_sel:[0,0,1] op_sel_hi:[1,1,0] neg_lo:[0,0,1] neg_hi:[0,0,1]
	v_pk_fma_f32 v[38:39], v[18:19], v[40:41], v[32:33] op_sel:[0,0,1] op_sel_hi:[0,1,0]
	s_waitcnt vmcnt(5)
	v_mov_b32_e32 v32, v37
	v_mov_b32_e32 v33, v36
	;; [unrolled: 1-line block ×3, first 2 shown]
	v_pk_mul_f32 v[40:41], v[18:19], v[32:33] op_sel_hi:[0,1]
	v_pk_fma_f32 v[32:33], v[20:21], v[36:37], v[40:41] neg_lo:[0,0,1] neg_hi:[0,0,1]
	v_pk_fma_f32 v[20:21], v[20:21], v[36:37], v[40:41] op_sel_hi:[0,1,1]
	v_mov_b32_e32 v18, v19
	v_pk_mul_f32 v[36:37], v[10:11], v[34:35] op_sel_hi:[0,1]
	v_pk_fma_f32 v[10:11], v[18:19], v[34:35], v[36:37] op_sel:[0,0,1] op_sel_hi:[1,1,0]
	v_mov_b32_e32 v18, v25
	v_mov_b32_e32 v20, v19
	v_pk_fma_f32 v[40:41], v[20:21], v[34:35], v[36:37] op_sel:[0,0,1] op_sel_hi:[0,1,0] neg_lo:[1,0,0] neg_hi:[1,0,0]
	v_mov_b32_e32 v20, v23
	v_add_u32_e32 v5, 0xb4, v1
	v_mul_lo_u32 v5, v46, v5
	v_mov_b32_e32 v33, v21
	v_mov_b32_e32 v27, v31
	;; [unrolled: 1-line block ×3, first 2 shown]
	v_pk_add_f32 v[26:27], v[32:33], v[26:27] neg_lo:[0,1] neg_hi:[0,1]
	v_mov_b32_e32 v17, v59
	v_pk_fma_f32 v[32:33], v[32:33], 2.0, v[26:27] op_sel_hi:[1,0,1] neg_lo:[0,0,1] neg_hi:[0,0,1]
	s_waitcnt vmcnt(1)
	v_pk_mul_f32 v[18:19], v[18:19], v[62:63] op_sel_hi:[0,1]
	v_pk_fma_f32 v[34:35], v[24:25], v[62:63], v[18:19] op_sel:[0,0,1] op_sel_hi:[1,1,0] neg_lo:[0,0,1] neg_hi:[0,0,1]
	v_pk_fma_f32 v[24:25], v[24:25], v[62:63], v[18:19] op_sel:[0,0,1] op_sel_hi:[0,1,0]
	v_mov_b32_e32 v18, v53
	v_pk_mul_f32 v[36:37], v[8:9], v[60:61] op_sel_hi:[0,1]
	v_mov_b32_e32 v8, v53
	v_pk_fma_f32 v[18:19], v[18:19], v[60:61], v[36:37] op_sel:[0,0,1] op_sel_hi:[1,1,0]
	v_pk_fma_f32 v[60:61], v[8:9], v[60:61], v[36:37] op_sel:[0,0,1] op_sel_hi:[0,1,0] neg_lo:[1,0,0] neg_hi:[1,0,0]
	v_mov_b32_e32 v8, v15
	s_waitcnt vmcnt(0)
	v_pk_mul_f32 v[36:37], v[14:15], v[66:67] op_sel_hi:[0,1]
	v_mov_b32_e32 v14, v23
	v_pk_mul_f32 v[62:63], v[8:9], v[68:69] op_sel_hi:[0,1]
	v_pk_fma_f32 v[14:15], v[14:15], v[66:67], v[36:37] op_sel:[0,0,1] op_sel_hi:[1,1,0]
	v_pk_fma_f32 v[64:65], v[20:21], v[66:67], v[36:37] op_sel:[0,0,1] op_sel_hi:[0,1,0] neg_lo:[1,0,0] neg_hi:[1,0,0]
	v_pk_fma_f32 v[36:37], v[22:23], v[68:69], v[62:63] op_sel:[0,0,1] op_sel_hi:[1,1,0] neg_lo:[0,0,1] neg_hi:[0,0,1]
	v_pk_fma_f32 v[62:63], v[22:23], v[68:69], v[62:63] op_sel:[0,0,1] op_sel_hi:[0,1,0]
	v_mov_b32_e32 v8, v7
	v_mov_b32_e32 v20, v7
	v_mov_b32_e32 v22, v9
	v_pk_mul_f32 v[6:7], v[6:7], v[74:75] op_sel_hi:[0,1]
	v_pk_fma_f32 v[8:9], v[8:9], v[74:75], v[6:7] op_sel:[0,0,1] op_sel_hi:[1,1,0]
	v_pk_fma_f32 v[66:67], v[20:21], v[74:75], v[6:7] op_sel:[0,0,1] op_sel_hi:[0,1,0] neg_lo:[1,0,0] neg_hi:[1,0,0]
	v_pk_mul_f32 v[6:7], v[22:23], v[76:77] op_sel_hi:[0,1]
	v_pk_fma_f32 v[22:23], v[52:53], v[76:77], v[6:7] op_sel:[0,0,1] op_sel_hi:[1,1,0] neg_lo:[0,0,1] neg_hi:[0,0,1]
	v_pk_fma_f32 v[52:53], v[52:53], v[76:77], v[6:7] op_sel:[0,0,1] op_sel_hi:[0,1,0]
	v_mov_b32_e32 v20, v13
	v_pk_mul_f32 v[12:13], v[12:13], v[70:71] op_sel_hi:[0,1]
	v_mov_b32_e32 v6, v51
	v_mov_b32_e32 v24, v51
	v_pk_fma_f32 v[6:7], v[6:7], v[70:71], v[12:13] op_sel:[0,0,1] op_sel_hi:[1,1,0]
	v_pk_fma_f32 v[68:69], v[24:25], v[70:71], v[12:13] op_sel:[0,0,1] op_sel_hi:[0,1,0] neg_lo:[1,0,0] neg_hi:[1,0,0]
	v_mov_b32_e32 v12, v73
	v_mov_b32_e32 v13, v72
	;; [unrolled: 1-line block ×3, first 2 shown]
	v_pk_mul_f32 v[70:71], v[20:21], v[12:13] op_sel_hi:[0,1]
	v_lshlrev_b32_sdwa v7, v24, v5 dst_sel:DWORD dst_unused:UNUSED_PAD src0_sel:DWORD src1_sel:BYTE_0
	v_pk_fma_f32 v[12:13], v[50:51], v[72:73], v[70:71] neg_lo:[0,0,1] neg_hi:[0,0,1]
	v_pk_fma_f32 v[50:51], v[50:51], v[72:73], v[70:71] op_sel_hi:[0,1,1]
	v_lshlrev_b32_sdwa v5, v24, v5 dst_sel:DWORD dst_unused:UNUSED_PAD src0_sel:DWORD src1_sel:BYTE_1
	s_waitcnt lgkmcnt(0)
	global_load_dwordx2 v[70:71], v7, s[0:1]
	global_load_dwordx2 v[72:73], v5, s[0:1] offset:2048
	v_add_u32_e32 v9, 0xa8, v1
	v_mul_lo_u32 v52, v46, v9
	v_lshlrev_b32_sdwa v5, v24, v52 dst_sel:DWORD dst_unused:UNUSED_PAD src0_sel:DWORD src1_sel:BYTE_0
	global_load_dwordx2 v[74:75], v5, s[0:1]
	v_or_b32_e32 v9, 0x90, v1
	v_mul_lo_u32 v9, v46, v9
	v_mov_b32_e32 v37, v63
	v_mov_b32_e32 v23, v53
	;; [unrolled: 1-line block ×4, first 2 shown]
	v_pk_add_f32 v[12:13], v[2:3], v[12:13] neg_lo:[0,1] neg_hi:[0,1]
	v_pk_add_f32 v[22:23], v[36:37], v[22:23] neg_lo:[0,1] neg_hi:[0,1]
	v_pk_add_f32 v[30:31], v[28:29], v[34:35] neg_lo:[0,1] neg_hi:[0,1]
	v_pk_fma_f32 v[2:3], v[2:3], 2.0, v[12:13] op_sel_hi:[1,0,1] neg_lo:[0,0,1] neg_hi:[0,0,1]
	v_pk_fma_f32 v[28:29], v[28:29], 2.0, v[30:31] op_sel_hi:[1,0,1] neg_lo:[0,0,1] neg_hi:[0,0,1]
	;; [unrolled: 1-line block ×3, first 2 shown]
	v_pk_add_f32 v[28:29], v[2:3], v[28:29] neg_lo:[0,1] neg_hi:[0,1]
	v_pk_add_f32 v[32:33], v[34:35], v[32:33] neg_lo:[0,1] neg_hi:[0,1]
	v_pk_fma_f32 v[2:3], v[2:3], 2.0, v[28:29] op_sel_hi:[1,0,1] neg_lo:[0,0,1] neg_hi:[0,0,1]
	v_pk_fma_f32 v[34:35], v[34:35], 2.0, v[32:33] op_sel_hi:[1,0,1] neg_lo:[0,0,1] neg_hi:[0,0,1]
	v_mov_b32_e32 v15, v65
	v_mov_b32_e32 v19, v61
	v_pk_add_f32 v[34:35], v[2:3], v[34:35] neg_lo:[0,1] neg_hi:[0,1]
	s_waitcnt vmcnt(1)
	v_mul_f32_e32 v5, v71, v73
	v_fma_f32 v56, v70, v72, -v5
	v_add_u32_e32 v5, 0x9c, v1
	v_mul_lo_u32 v5, v46, v5
	v_mul_f32_e32 v58, v70, v73
	v_lshlrev_b32_sdwa v7, v24, v5 dst_sel:DWORD dst_unused:UNUSED_PAD src0_sel:DWORD src1_sel:BYTE_0
	v_fmac_f32_e32 v58, v71, v72
	v_lshlrev_b32_sdwa v5, v24, v5 dst_sel:DWORD dst_unused:UNUSED_PAD src0_sel:DWORD src1_sel:BYTE_1
	global_load_dwordx2 v[70:71], v7, s[0:1]
	global_load_dwordx2 v[72:73], v5, s[0:1] offset:2048
	v_lshlrev_b32_sdwa v5, v24, v9 dst_sel:DWORD dst_unused:UNUSED_PAD src0_sel:DWORD src1_sel:BYTE_0
	global_load_dwordx2 v[76:77], v5, s[0:1]
	v_fma_f32 v25, v2, 2.0, -v34
	s_waitcnt vmcnt(1)
	v_mul_f32_e32 v5, v71, v73
	v_fma_f32 v60, v70, v72, -v5
	v_mul_f32_e32 v62, v70, v73
	v_lshlrev_b32_sdwa v5, v24, v9 dst_sel:DWORD dst_unused:UNUSED_PAD src0_sel:DWORD src1_sel:BYTE_1
	v_fmac_f32_e32 v62, v71, v72
	global_load_dwordx2 v[72:73], v5, s[0:1] offset:2048
	v_add_u32_e32 v5, 0x84, v1
	v_mul_lo_u32 v5, v46, v5
	v_add_u32_e32 v9, 0x78, v1
	v_lshlrev_b32_sdwa v7, v24, v5 dst_sel:DWORD dst_unused:UNUSED_PAD src0_sel:DWORD src1_sel:BYTE_0
	v_mul_lo_u32 v9, v46, v9
	v_lshlrev_b32_sdwa v5, v24, v5 dst_sel:DWORD dst_unused:UNUSED_PAD src0_sel:DWORD src1_sel:BYTE_1
	v_lshlrev_b32_sdwa v11, v24, v9 dst_sel:DWORD dst_unused:UNUSED_PAD src0_sel:DWORD src1_sel:BYTE_0
	v_lshlrev_b32_sdwa v9, v24, v9 dst_sel:DWORD dst_unused:UNUSED_PAD src0_sel:DWORD src1_sel:BYTE_1
	s_waitcnt vmcnt(0)
	v_mov_b32_e32 v20, v73
	v_pk_mul_f32 v[78:79], v[76:77], v[72:73] op_sel:[1,0] op_sel_hi:[0,1]
	v_pk_mul_f32 v[70:71], v[76:77], v[20:21] op_sel:[1,0] op_sel_hi:[0,1]
	v_mov_b32_e32 v20, v79
	v_pk_fma_f32 v[70:71], v[76:77], v[72:73], v[70:71] neg_lo:[0,0,1] neg_hi:[0,0,1]
	v_pk_fma_f32 v[72:73], v[76:77], v[72:73], v[20:21] op_sel:[1,0,0] op_sel_hi:[0,1,1]
	global_load_dwordx2 v[80:81], v7, s[0:1]
	global_load_dwordx2 v[82:83], v5, s[0:1] offset:2048
	global_load_dwordx2 v[78:79], v11, s[0:1]
	global_load_dwordx2 v[76:77], v9, s[0:1] offset:2048
	v_or_b32_e32 v9, 0x60, v1
	v_mul_lo_u32 v9, v46, v9
	v_lshlrev_b32_sdwa v11, v24, v9 dst_sel:DWORD dst_unused:UNUSED_PAD src0_sel:DWORD src1_sel:BYTE_0
	v_lshlrev_b32_sdwa v9, v24, v9 dst_sel:DWORD dst_unused:UNUSED_PAD src0_sel:DWORD src1_sel:BYTE_1
	s_waitcnt vmcnt(2)
	v_mul_f32_e32 v5, v81, v83
	v_fma_f32 v64, v80, v82, -v5
	v_add_u32_e32 v5, 0x6c, v1
	v_mul_lo_u32 v5, v46, v5
	v_mul_f32_e32 v66, v80, v83
	v_lshlrev_b32_sdwa v7, v24, v5 dst_sel:DWORD dst_unused:UNUSED_PAD src0_sel:DWORD src1_sel:BYTE_0
	v_fmac_f32_e32 v66, v81, v82
	v_lshlrev_b32_sdwa v5, v24, v5 dst_sel:DWORD dst_unused:UNUSED_PAD src0_sel:DWORD src1_sel:BYTE_1
	global_load_dwordx2 v[80:81], v7, s[0:1]
	global_load_dwordx2 v[82:83], v5, s[0:1] offset:2048
	global_load_dwordx2 v[84:85], v11, s[0:1]
	global_load_dwordx2 v[86:87], v9, s[0:1] offset:2048
	v_add_u32_e32 v9, 0x48, v1
	v_mul_lo_u32 v9, v46, v9
	v_lshlrev_b32_sdwa v11, v24, v9 dst_sel:DWORD dst_unused:UNUSED_PAD src0_sel:DWORD src1_sel:BYTE_0
	v_lshlrev_b32_sdwa v9, v24, v9 dst_sel:DWORD dst_unused:UNUSED_PAD src0_sel:DWORD src1_sel:BYTE_1
	s_waitcnt vmcnt(2)
	v_mul_f32_e32 v5, v81, v83
	v_fma_f32 v68, v80, v82, -v5
	s_waitcnt vmcnt(0)
	v_mul_f32_e32 v5, v85, v87
	v_fma_f32 v91, v84, v86, -v5
	v_add_u32_e32 v5, 0x54, v1
	v_mul_lo_u32 v5, v46, v5
	v_mul_f32_e32 v90, v80, v83
	v_mul_f32_e32 v92, v84, v87
	v_lshlrev_b32_sdwa v7, v24, v5 dst_sel:DWORD dst_unused:UNUSED_PAD src0_sel:DWORD src1_sel:BYTE_0
	v_fmac_f32_e32 v90, v81, v82
	v_fmac_f32_e32 v92, v85, v86
	v_lshlrev_b32_sdwa v5, v24, v5 dst_sel:DWORD dst_unused:UNUSED_PAD src0_sel:DWORD src1_sel:BYTE_1
	global_load_dwordx2 v[80:81], v7, s[0:1]
	global_load_dwordx2 v[82:83], v5, s[0:1] offset:2048
	global_load_dwordx2 v[84:85], v11, s[0:1]
	global_load_dwordx2 v[86:87], v9, s[0:1] offset:2048
	v_or_b32_e32 v9, 48, v1
	v_mul_lo_u32 v9, v46, v9
	v_lshlrev_b32_sdwa v11, v24, v9 dst_sel:DWORD dst_unused:UNUSED_PAD src0_sel:DWORD src1_sel:BYTE_0
	v_lshlrev_b32_sdwa v9, v24, v9 dst_sel:DWORD dst_unused:UNUSED_PAD src0_sel:DWORD src1_sel:BYTE_1
	s_waitcnt vmcnt(2)
	v_mul_f32_e32 v5, v81, v83
	v_fma_f32 v93, v80, v82, -v5
	s_waitcnt vmcnt(0)
	v_mul_f32_e32 v5, v85, v87
	v_fma_f32 v95, v84, v86, -v5
	v_add_u32_e32 v5, 60, v1
	v_mul_lo_u32 v5, v46, v5
	v_mul_f32_e32 v94, v80, v83
	v_mul_f32_e32 v96, v84, v87
	v_lshlrev_b32_sdwa v7, v24, v5 dst_sel:DWORD dst_unused:UNUSED_PAD src0_sel:DWORD src1_sel:BYTE_0
	v_fmac_f32_e32 v94, v81, v82
	v_fmac_f32_e32 v96, v85, v86
	v_lshlrev_b32_sdwa v5, v24, v5 dst_sel:DWORD dst_unused:UNUSED_PAD src0_sel:DWORD src1_sel:BYTE_1
	global_load_dwordx2 v[80:81], v7, s[0:1]
	global_load_dwordx2 v[82:83], v5, s[0:1] offset:2048
	global_load_dwordx2 v[84:85], v11, s[0:1]
	global_load_dwordx2 v[86:87], v9, s[0:1] offset:2048
	v_add_u32_e32 v9, 24, v1
	v_mul_lo_u32 v9, v46, v9
	v_lshlrev_b32_sdwa v11, v24, v9 dst_sel:DWORD dst_unused:UNUSED_PAD src0_sel:DWORD src1_sel:BYTE_0
	v_lshlrev_b32_sdwa v9, v24, v9 dst_sel:DWORD dst_unused:UNUSED_PAD src0_sel:DWORD src1_sel:BYTE_1
	s_waitcnt vmcnt(2)
	v_mul_f32_e32 v5, v81, v83
	v_fma_f32 v97, v80, v82, -v5
	s_waitcnt vmcnt(0)
	v_mul_f32_e32 v5, v85, v87
	v_fma_f32 v99, v84, v86, -v5
	v_add_u32_e32 v5, 36, v1
	v_mul_lo_u32 v5, v46, v5
	v_mul_f32_e32 v98, v80, v83
	v_mul_f32_e32 v100, v84, v87
	v_lshlrev_b32_sdwa v7, v24, v5 dst_sel:DWORD dst_unused:UNUSED_PAD src0_sel:DWORD src1_sel:BYTE_0
	v_fmac_f32_e32 v98, v81, v82
	v_fmac_f32_e32 v100, v85, v86
	v_lshlrev_b32_sdwa v5, v24, v5 dst_sel:DWORD dst_unused:UNUSED_PAD src0_sel:DWORD src1_sel:BYTE_1
	global_load_dwordx2 v[80:81], v7, s[0:1]
	global_load_dwordx2 v[82:83], v5, s[0:1] offset:2048
	global_load_dwordx2 v[84:85], v11, s[0:1]
	global_load_dwordx2 v[86:87], v9, s[0:1] offset:2048
	v_mul_lo_u32 v7, v46, v1
	v_lshlrev_b32_sdwa v11, v24, v7 dst_sel:DWORD dst_unused:UNUSED_PAD src0_sel:DWORD src1_sel:BYTE_0
	v_lshlrev_b32_sdwa v7, v24, v7 dst_sel:DWORD dst_unused:UNUSED_PAD src0_sel:DWORD src1_sel:BYTE_1
	s_waitcnt vmcnt(2)
	v_mul_f32_e32 v5, v81, v83
	v_fma_f32 v101, v80, v82, -v5
	s_waitcnt vmcnt(0)
	v_mul_f32_e32 v5, v85, v87
	v_fma_f32 v103, v84, v86, -v5
	v_add_u32_e32 v5, 12, v1
	v_mul_f32_e32 v102, v80, v83
	v_mul_f32_e32 v104, v84, v87
	v_mul_lo_u32 v5, v46, v5
	v_fmac_f32_e32 v102, v81, v82
	v_fmac_f32_e32 v104, v85, v86
	v_lshlrev_b32_sdwa v9, v24, v5 dst_sel:DWORD dst_unused:UNUSED_PAD src0_sel:DWORD src1_sel:BYTE_0
	v_lshlrev_b32_sdwa v5, v24, v5 dst_sel:DWORD dst_unused:UNUSED_PAD src0_sel:DWORD src1_sel:BYTE_1
	global_load_dwordx2 v[46:47], v11, s[0:1]
	global_load_dwordx2 v[80:81], v7, s[0:1] offset:2048
	global_load_dwordx2 v[82:83], v5, s[0:1] offset:2048
	global_load_dwordx2 v[84:85], v9, s[0:1]
	v_mov_b32_e32 v9, v67
	v_mov_b32_e32 v11, v41
	;; [unrolled: 1-line block ×3, first 2 shown]
	s_waitcnt vmcnt(2)
	v_mul_f32_e32 v5, v47, v81
	s_waitcnt vmcnt(1)
	v_mov_b32_e32 v20, v83
	s_waitcnt vmcnt(0)
	v_pk_mul_f32 v[88:89], v[84:85], v[82:83] op_sel:[1,0] op_sel_hi:[0,1]
	v_pk_mul_f32 v[86:87], v[84:85], v[20:21] op_sel:[1,0] op_sel_hi:[0,1]
	v_mov_b32_e32 v20, v89
	v_mul_f32_e32 v40, v46, v81
	v_pk_fma_f32 v[86:87], v[84:85], v[82:83], v[86:87] neg_lo:[0,0,1] neg_hi:[0,0,1]
	v_pk_fma_f32 v[82:83], v[84:85], v[82:83], v[20:21] op_sel:[1,0,0] op_sel_hi:[0,1,1]
	v_fma_f32 v38, v46, v80, -v5
	v_fmac_f32_e32 v40, v80, v47
	v_pk_mul_f32 v[46:47], v[48:49], v[54:55] op_sel_hi:[0,1]
	v_mov_b32_e32 v20, v49
	v_pk_fma_f32 v[80:81], v[20:21], v[54:55], v[46:47] op_sel:[0,0,1] op_sel_hi:[1,1,0]
	v_pk_fma_f32 v[46:47], v[20:21], v[54:55], v[46:47] op_sel:[0,0,1] op_sel_hi:[0,1,0] neg_lo:[1,0,0] neg_hi:[1,0,0]
	v_mov_b32_e32 v5, v57
	v_mov_b32_e32 v81, v47
	v_fma_f32 v21, v3, 2.0, -v35
	v_pk_add_f32 v[2:3], v[14:15], v[8:9] neg_lo:[0,1] neg_hi:[0,1]
	v_pk_add_f32 v[4:5], v[10:11], v[4:5] neg_lo:[0,1] neg_hi:[0,1]
	;; [unrolled: 1-line block ×4, first 2 shown]
	v_pk_fma_f32 v[14:15], v[14:15], 2.0, v[2:3] op_sel_hi:[1,0,1] neg_lo:[0,0,1] neg_hi:[0,0,1]
	v_pk_fma_f32 v[10:11], v[10:11], 2.0, v[4:5] op_sel_hi:[1,0,1] neg_lo:[0,0,1] neg_hi:[0,0,1]
	;; [unrolled: 1-line block ×4, first 2 shown]
	v_pk_add_f32 v[10:11], v[14:15], v[10:11] neg_lo:[0,1] neg_hi:[0,1]
	v_pk_add_f32 v[6:7], v[16:17], v[6:7] neg_lo:[0,1] neg_hi:[0,1]
	v_pk_fma_f32 v[14:15], v[14:15], 2.0, v[10:11] op_sel_hi:[1,0,1] neg_lo:[0,0,1] neg_hi:[0,0,1]
	v_pk_fma_f32 v[16:17], v[16:17], 2.0, v[6:7] op_sel_hi:[1,0,1] neg_lo:[0,0,1] neg_hi:[0,0,1]
	v_add_u32_e32 v20, v42, v44
	v_pk_add_f32 v[16:17], v[14:15], v[16:17] neg_lo:[0,1] neg_hi:[0,1]
	v_pk_add_f32 v[42:43], v[12:13], v[30:31] op_sel:[0,1] op_sel_hi:[1,0] neg_lo:[0,1] neg_hi:[0,1]
	v_fma_f32 v15, v15, 2.0, -v17
	v_fma_f32 v14, v14, 2.0, -v16
	v_sub_f32_e32 v59, v25, v15
	v_sub_f32_e32 v57, v21, v14
	v_fma_f32 v14, v25, 2.0, -v59
	v_fma_f32 v21, v21, 2.0, -v57
	v_mul_f32_e32 v15, v14, v40
	v_mul_f32_e32 v25, v21, v40
	v_fmac_f32_e32 v15, v21, v38
	v_mul_u32_u24_e32 v21, 0x156, v0
	v_mul_lo_u16_sdwa v21, v21, s2 dst_sel:DWORD dst_unused:UNUSED_PAD src0_sel:WORD_1 src1_sel:DWORD
	v_sub_u16_e32 v21, v0, v21
	v_sub_u32_e32 v0, v0, v21
	v_add_u32_e32 v21, v0, v1
	v_mad_u64_u32 v[0:1], s[2:3], s10, v21, v[20:21]
	v_mov_b32_e32 v1, 0
	v_fma_f32 v14, v14, v38, -v25
	v_lshl_add_u64 v[36:37], v[0:1], 3, s[8:9]
	v_mov_b32_e32 v0, v9
	global_store_dwordx2 v[36:37], v[14:15], off
	v_pk_add_f32 v[14:15], v[0:1], v[18:19] neg_lo:[0,1] neg_hi:[0,1]
	v_mov_b32_e32 v0, v19
	v_pk_add_f32 v[18:19], v[8:9], v[0:1]
	v_pk_add_f32 v[36:37], v[2:3], v[4:5] op_sel:[1,0] op_sel_hi:[0,1] neg_lo:[0,1] neg_hi:[0,1]
	v_pk_add_f32 v[4:5], v[2:3], v[4:5] op_sel:[1,0] op_sel_hi:[0,1]
	v_pk_add_f32 v[8:9], v[8:9], v[8:9]
	v_mov_b32_e32 v37, v5
	v_mov_b32_e32 v15, v18
	s_mov_b32 s2, 0x3f3504f3
	v_pk_add_f32 v[8:9], v[8:9], v[14:15] op_sel:[1,0] op_sel_hi:[0,1] neg_lo:[0,1] neg_hi:[0,1]
	v_pk_fma_f32 v[2:3], v[2:3], 2.0, v[36:37] op_sel:[1,0,0] op_sel_hi:[0,0,1] neg_lo:[0,0,1] neg_hi:[0,0,1]
	v_pk_mul_f32 v[38:39], v[8:9], s[2:3] op_sel_hi:[1,0]
	v_pk_fma_f32 v[8:9], v[8:9], s[2:3], v[2:3] op_sel_hi:[1,0,1] neg_lo:[1,0,0] neg_hi:[1,0,0]
	v_pk_add_f32 v[30:31], v[12:13], v[30:31] op_sel:[0,1] op_sel_hi:[1,0]
	v_pk_add_f32 v[40:41], v[8:9], v[38:39] op_sel:[0,1] op_sel_hi:[1,0] neg_lo:[0,1] neg_hi:[0,1]
	v_pk_add_f32 v[8:9], v[8:9], v[38:39] op_sel:[0,1] op_sel_hi:[1,0]
	v_pk_add_f32 v[38:39], v[22:23], v[26:27] op_sel:[0,1] op_sel_hi:[1,0] neg_lo:[0,1] neg_hi:[0,1]
	v_pk_add_f32 v[26:27], v[22:23], v[26:27] op_sel:[0,1] op_sel_hi:[1,0]
	v_mov_b32_e32 v43, v31
	v_mov_b32_e32 v39, v27
	v_pk_fma_f32 v[22:23], v[22:23], 2.0, v[38:39] op_sel_hi:[1,0,1] neg_lo:[0,0,1] neg_hi:[0,0,1]
	v_pk_fma_f32 v[12:13], v[12:13], 2.0, v[42:43] op_sel_hi:[1,0,1] neg_lo:[0,0,1] neg_hi:[0,0,1]
	v_pk_mul_f32 v[44:45], v[22:23], s[2:3] op_sel_hi:[1,0]
	v_pk_fma_f32 v[22:23], v[22:23], s[2:3], v[12:13] op_sel_hi:[1,0,1] neg_lo:[1,0,0] neg_hi:[1,0,0]
	v_mov_b32_e32 v41, v9
	v_pk_add_f32 v[46:47], v[22:23], v[44:45] op_sel:[0,1] op_sel_hi:[1,0] neg_lo:[0,1] neg_hi:[0,1]
	v_pk_add_f32 v[22:23], v[22:23], v[44:45] op_sel:[0,1] op_sel_hi:[1,0]
	v_pk_fma_f32 v[2:3], v[2:3], 2.0, v[40:41] op_sel_hi:[1,0,1] neg_lo:[0,0,1] neg_hi:[0,0,1]
	v_mov_b32_e32 v47, v23
	v_pk_fma_f32 v[12:13], v[12:13], 2.0, v[46:47] op_sel_hi:[1,0,1] neg_lo:[0,0,1] neg_hi:[0,0,1]
	v_add_u32_e32 v0, 12, v21
	v_pk_fma_f32 v[44:45], v[2:3], s[6:7], v[12:13] op_sel_hi:[1,0,1]
	v_pk_mul_f32 v[2:3], v[2:3], s[4:5] op_sel_hi:[1,0]
	v_mul_f32_e32 v55, v78, v77
	v_pk_add_f32 v[48:49], v[44:45], v[2:3] op_sel:[0,1] op_sel_hi:[1,0] neg_lo:[0,1] neg_hi:[0,1]
	v_pk_add_f32 v[2:3], v[44:45], v[2:3] op_sel:[0,1] op_sel_hi:[1,0]
	v_fmamk_f32 v22, v18, 0x3f3504f3, v5
	v_mov_b32_e32 v49, v3
	v_pk_fma_f32 v[12:13], v[12:13], 2.0, v[48:49] op_sel_hi:[1,0,1] neg_lo:[0,0,1] neg_hi:[0,0,1]
	v_fmac_f32_e32 v22, 0x3f3504f3, v14
	v_pk_mul_f32 v[44:45], v[82:83], v[12:13] op_sel_hi:[0,1]
	v_pk_fma_f32 v[50:51], v[86:87], v[12:13], v[44:45] op_sel:[0,0,1] op_sel_hi:[1,1,0] neg_lo:[0,0,1] neg_hi:[0,0,1]
	v_pk_fma_f32 v[12:13], v[86:87], v[12:13], v[44:45] op_sel:[0,0,1] op_sel_hi:[0,1,0]
	v_mov_b32_e32 v51, v13
	v_mad_u64_u32 v[12:13], s[4:5], s10, v0, v[20:21]
	v_mov_b32_e32 v13, v1
	v_lshl_add_u64 v[12:13], v[12:13], 3, s[8:9]
	v_lshlrev_b32_sdwa v0, v24, v52 dst_sel:DWORD dst_unused:UNUSED_PAD src0_sel:DWORD src1_sel:BYTE_1
	global_store_dwordx2 v[12:13], v[50:51], off
	global_load_dwordx2 v[12:13], v0, s[0:1] offset:2048
	v_mov_b32_e32 v0, v11
	v_pk_add_f32 v[44:45], v[0:1], v[6:7] neg_lo:[0,1] neg_hi:[0,1]
	v_mov_b32_e32 v0, v29
	v_pk_add_f32 v[50:51], v[0:1], v[32:33]
	v_mov_b32_e32 v0, v7
	v_pk_add_f32 v[6:7], v[10:11], v[0:1]
	v_mov_b32_e32 v24, 0x3f3504f3
	v_mov_b32_e32 v7, v75
	v_fma_f32 v10, v10, 2.0, -v6
	v_fma_f32 v5, v5, 2.0, -v22
	s_waitcnt vmcnt(0)
	v_mov_b32_e32 v25, v13
	v_mul_f32_e32 v0, v74, v13
	v_pk_fma_f32 v[52:53], v[6:7], v[24:25], v[50:51]
	v_mul_f32_e32 v2, v74, v12
	v_mov_b32_e32 v53, v0
	v_mov_b32_e32 v0, v33
	;; [unrolled: 1-line block ×5, first 2 shown]
	v_pk_add_f32 v[32:33], v[28:29], v[0:1] neg_lo:[0,1] neg_hi:[0,1]
	v_pk_fma_f32 v[12:13], v[74:75], v[12:13], v[52:53]
	v_mul_f32_e32 v53, v78, v76
	v_fma_f32 v78, v11, 2.0, -v44
	v_pk_fma_f32 v[44:45], v[44:45], s[2:3], v[32:33]
	v_fma_f32 v0, v29, 2.0, -v50
	v_mov_b32_e32 v45, v2
	v_fma_f32 v2, v28, 2.0, -v32
	v_pk_mul_f32 v[28:29], v[78:79], s[2:3]
	v_pk_fma_f32 v[6:7], v[6:7], v[24:25], v[44:45] neg_lo:[1,0,0] neg_hi:[1,0,0]
	v_mov_b32_e32 v25, v76
	v_mov_b32_e32 v76, v24
	v_fmamk_f32 v54, v10, 0xbf3504f3, v0
	v_mov_b32_e32 v11, v79
	v_sub_f32_e32 v52, v2, v28
	v_pk_fma_f32 v[24:25], v[78:79], v[24:25], v[54:55]
	v_pk_fma_f32 v[10:11], v[10:11], v[76:77], v[52:53] neg_lo:[1,0,0] neg_hi:[1,0,0]
	v_mov_b32_e32 v44, v25
	v_mov_b32_e32 v45, v10
	;; [unrolled: 1-line block ×4, first 2 shown]
	v_pk_mul_f32 v[44:45], v[24:25], v[44:45]
	v_fma_f32 v2, v2, 2.0, -v10
	v_pk_fma_f32 v[52:53], v[10:11], v[28:29], v[44:45] neg_lo:[0,0,1] neg_hi:[0,0,1]
	v_pk_fma_f32 v[28:29], v[10:11], v[28:29], v[44:45]
	v_fma_f32 v0, v0, 2.0, -v24
	v_mul_f32_e32 v11, v104, v2
	v_mul_f32_e32 v4, v104, v0
	v_fmac_f32_e32 v11, v103, v0
	v_add_u32_e32 v0, 24, v21
	v_fmamk_f32 v28, v27, 0x3f3504f3, v31
	v_mad_u64_u32 v[24:25], s[0:1], s10, v0, v[20:21]
	v_fmamk_f32 v0, v14, 0x3f3504f3, v36
	v_fmac_f32_e32 v28, 0x3f3504f3, v38
	v_fmamk_f32 v38, v38, 0x3f3504f3, v42
	v_fmac_f32_e32 v0, 0xbf3504f3, v18
	v_fmac_f32_e32 v38, 0xbf3504f3, v27
	v_fma_f32 v10, v103, v2, -v4
	v_fma_f32 v2, v36, 2.0, -v0
	v_fma_f32 v4, v31, 2.0, -v28
	;; [unrolled: 1-line block ×3, first 2 shown]
	v_fmamk_f32 v36, v5, 0xbec3ef15, v4
	v_fmamk_f32 v33, v2, 0xbec3ef15, v8
	v_fmac_f32_e32 v36, 0x3f6c835e, v2
	v_fmac_f32_e32 v33, 0xbf6c835e, v5
	v_fma_f32 v2, v4, 2.0, -v36
	v_fma_f32 v4, v8, 2.0, -v33
	v_mov_b32_e32 v25, v1
	v_mul_f32_e32 v5, v4, v102
	v_lshl_add_u64 v[24:25], v[24:25], 3, s[8:9]
	v_mul_f32_e32 v8, v2, v102
	v_fmac_f32_e32 v5, v2, v101
	v_add_u32_e32 v2, 36, v21
	global_store_dwordx2 v[24:25], v[10:11], off
	v_mad_u64_u32 v[10:11], s[0:1], s10, v2, v[20:21]
	v_mov_b32_e32 v11, v1
	v_fma_f32 v4, v4, v101, -v8
	v_lshl_add_u64 v[10:11], v[10:11], 3, s[8:9]
	global_store_dwordx2 v[10:11], v[4:5], off
	v_pk_add_f32 v[4:5], v[34:35], v[16:17] neg_lo:[0,1] neg_hi:[0,1]
	v_pk_add_f32 v[10:11], v[34:35], v[16:17]
	v_mov_b32_e32 v15, v4
	v_mov_b32_e32 v14, v11
	v_pk_mul_f32 v[14:15], v[14:15], v[72:73] op_sel_hi:[1,0]
	v_mov_b32_e32 v10, v4
	v_pk_fma_f32 v[16:17], v[4:5], v[70:71], v[14:15] neg_lo:[0,0,1] neg_hi:[0,0,1]
	v_pk_fma_f32 v[14:15], v[10:11], v[70:71], v[14:15] op_sel_hi:[1,0,1]
	v_fma_f32 v8, v35, 2.0, -v11
	v_mul_f32_e32 v2, v3, v90
	v_mul_f32_e32 v5, v48, v90
	v_mov_b32_e32 v10, v13
	v_mov_b32_e32 v11, v6
	v_fma_f32 v14, v34, 2.0, -v4
	v_fma_f32 v4, v48, v68, -v2
	v_fmac_f32_e32 v5, v3, v68
	v_mov_b32_e32 v2, v7
	v_mov_b32_e32 v3, v12
	v_pk_mul_f32 v[10:11], v[12:13], v[10:11]
	v_fma_f32 v17, v50, 2.0, -v12
	v_pk_fma_f32 v[12:13], v[6:7], v[2:3], v[10:11] neg_lo:[0,0,1] neg_hi:[0,0,1]
	v_fmamk_f32 v39, v22, 0x3f6c835e, v28
	v_add_u32_e32 v13, 60, v21
	v_mad_u64_u32 v[18:19], s[0:1], s10, v13, v[20:21]
	v_add_u32_e32 v13, 0x48, v21
	v_mul_f32_e32 v24, v8, v100
	v_fmac_f32_e32 v39, 0x3ec3ef15, v0
	v_fmamk_f32 v0, v0, 0x3f6c835e, v38
	v_mul_f32_e32 v25, v14, v100
	v_fma_f32 v24, v14, v99, -v24
	v_mad_u64_u32 v[26:27], s[0:1], s10, v13, v[20:21]
	v_add_u32_e32 v13, 0x54, v21
	v_fmamk_f32 v14, v40, 0x3ec3ef15, v46
	v_fmac_f32_e32 v0, 0xbec3ef15, v22
	v_mul_f32_e32 v34, v39, v58
	v_fma_f32 v28, v28, 2.0, -v39
	v_mad_u64_u32 v[30:31], s[0:1], s10, v13, v[20:21]
	v_fmamk_f32 v13, v9, 0x3ec3ef15, v23
	v_fmac_f32_e32 v14, 0xbf6c835e, v9
	v_mul_f32_e32 v9, v33, v66
	v_add_u32_e32 v22, 0x6c, v21
	v_mul_f32_e32 v35, v0, v58
	v_fma_f32 v34, v0, v56, -v34
	v_fma_f32 v0, v38, 2.0, -v0
	v_mul_f32_e32 v38, v28, v94
	v_fmac_f32_e32 v25, v8, v99
	v_fmac_f32_e32 v13, 0x3f6c835e, v40
	v_mul_f32_e32 v8, v36, v66
	v_fmac_f32_e32 v9, v36, v64
	v_mad_u64_u32 v[36:37], s[0:1], s10, v22, v[20:21]
	v_fmac_f32_e32 v35, v39, v56
	v_add_u32_e32 v22, 0x78, v21
	v_mul_f32_e32 v39, v0, v94
	v_fma_f32 v38, v0, v93, -v38
	v_add_u32_e32 v0, 0x84, v21
	v_mad_u64_u32 v[40:41], s[0:1], s10, v22, v[20:21]
	v_mul_f32_e32 v43, v14, v62
	v_mul_f32_e32 v22, v13, v62
	v_mad_u64_u32 v[44:45], s[0:1], s10, v0, v[20:21]
	v_add_u32_e32 v0, 0x90, v21
	v_pk_fma_f32 v[2:3], v[6:7], v[2:3], v[10:11]
	v_fma_f32 v42, v14, v60, -v22
	v_fmac_f32_e32 v43, v13, v60
	v_fma_f32 v13, v23, 2.0, -v13
	v_mad_u64_u32 v[22:23], s[0:1], s10, v0, v[20:21]
	v_add_u32_e32 v0, 0x9c, v21
	v_fma_f32 v14, v46, 2.0, -v14
	v_add_u32_e32 v2, 48, v21
	v_mul_f32_e32 v47, v14, v98
	v_mad_u64_u32 v[48:49], s[0:1], s10, v0, v[20:21]
	v_add_u32_e32 v0, 0xa8, v21
	v_mad_u64_u32 v[10:11], s[0:1], s10, v2, v[20:21]
	v_fma_f32 v2, v32, 2.0, -v6
	v_fmac_f32_e32 v39, v28, v93
	v_mul_f32_e32 v28, v13, v98
	v_fmac_f32_e32 v47, v13, v97
	v_mul_f32_e32 v13, v17, v96
	v_mad_u64_u32 v[54:55], s[0:1], s10, v0, v[20:21]
	v_add_u32_e32 v0, 0xb4, v21
	v_add_u32_e32 v32, 0x60, v21
	v_mul_f32_e32 v51, v2, v96
	v_fma_f32 v50, v2, v95, -v13
	v_mov_b32_e32 v13, v3
	v_mad_u64_u32 v[2:3], s[0:1], s10, v0, v[20:21]
	v_mov_b32_e32 v11, v1
	v_fma_f32 v8, v33, v64, -v8
	v_mad_u64_u32 v[32:33], s[0:1], s10, v32, v[20:21]
	v_mov_b32_e32 v41, v1
	v_mov_b32_e32 v23, v1
	;; [unrolled: 1-line block ×4, first 2 shown]
	v_lshl_add_u64 v[10:11], v[10:11], 3, s[8:9]
	v_mul_f32_e32 v7, v59, v92
	v_mul_f32_e32 v6, v57, v92
	v_mov_b32_e32 v19, v1
	v_mov_b32_e32 v27, v1
	;; [unrolled: 1-line block ×5, first 2 shown]
	v_lshl_add_u64 v[40:41], v[40:41], 3, s[8:9]
	v_mov_b32_e32 v45, v1
	v_lshl_add_u64 v[22:23], v[22:23], 3, s[8:9]
	v_mov_b32_e32 v49, v1
	v_fmac_f32_e32 v51, v17, v95
	v_lshl_add_u64 v[54:55], v[54:55], 3, s[8:9]
	v_mov_b32_e32 v53, v29
	v_mov_b32_e32 v17, v15
	v_lshl_add_u64 v[0:1], v[2:3], 3, s[8:9]
	v_fma_f32 v6, v59, v91, -v6
	v_lshl_add_u64 v[18:19], v[18:19], 3, s[8:9]
	v_fmac_f32_e32 v7, v57, v91
	v_lshl_add_u64 v[26:27], v[26:27], 3, s[8:9]
	v_lshl_add_u64 v[30:31], v[30:31], 3, s[8:9]
	;; [unrolled: 1-line block ×5, first 2 shown]
	v_fma_f32 v46, v14, v97, -v28
	v_lshl_add_u64 v[48:49], v[48:49], 3, s[8:9]
	global_store_dwordx2 v[10:11], v[24:25], off
	global_store_dwordx2 v[18:19], v[46:47], off
	;; [unrolled: 1-line block ×12, first 2 shown]
.LBB0_34:
	s_endpgm
	.section	.rodata,"a",@progbits
	.p2align	6, 0x0
	.amdhsa_kernel fft_rtc_fwd_len192_factors_4_3_16_wgs_256_tpt_16_dim3_sp_ip_CI_sbcc_twdbase8_2step_dirReg_intrinsicReadWrite
		.amdhsa_group_segment_fixed_size 0
		.amdhsa_private_segment_fixed_size 0
		.amdhsa_kernarg_size 88
		.amdhsa_user_sgpr_count 2
		.amdhsa_user_sgpr_dispatch_ptr 0
		.amdhsa_user_sgpr_queue_ptr 0
		.amdhsa_user_sgpr_kernarg_segment_ptr 1
		.amdhsa_user_sgpr_dispatch_id 0
		.amdhsa_user_sgpr_kernarg_preload_length 0
		.amdhsa_user_sgpr_kernarg_preload_offset 0
		.amdhsa_user_sgpr_private_segment_size 0
		.amdhsa_uses_dynamic_stack 0
		.amdhsa_enable_private_segment 0
		.amdhsa_system_sgpr_workgroup_id_x 1
		.amdhsa_system_sgpr_workgroup_id_y 0
		.amdhsa_system_sgpr_workgroup_id_z 0
		.amdhsa_system_sgpr_workgroup_info 0
		.amdhsa_system_vgpr_workitem_id 0
		.amdhsa_next_free_vgpr 105
		.amdhsa_next_free_sgpr 26
		.amdhsa_accum_offset 108
		.amdhsa_reserve_vcc 1
		.amdhsa_float_round_mode_32 0
		.amdhsa_float_round_mode_16_64 0
		.amdhsa_float_denorm_mode_32 3
		.amdhsa_float_denorm_mode_16_64 3
		.amdhsa_dx10_clamp 1
		.amdhsa_ieee_mode 1
		.amdhsa_fp16_overflow 0
		.amdhsa_tg_split 0
		.amdhsa_exception_fp_ieee_invalid_op 0
		.amdhsa_exception_fp_denorm_src 0
		.amdhsa_exception_fp_ieee_div_zero 0
		.amdhsa_exception_fp_ieee_overflow 0
		.amdhsa_exception_fp_ieee_underflow 0
		.amdhsa_exception_fp_ieee_inexact 0
		.amdhsa_exception_int_div_zero 0
	.end_amdhsa_kernel
	.text
.Lfunc_end0:
	.size	fft_rtc_fwd_len192_factors_4_3_16_wgs_256_tpt_16_dim3_sp_ip_CI_sbcc_twdbase8_2step_dirReg_intrinsicReadWrite, .Lfunc_end0-fft_rtc_fwd_len192_factors_4_3_16_wgs_256_tpt_16_dim3_sp_ip_CI_sbcc_twdbase8_2step_dirReg_intrinsicReadWrite
                                        ; -- End function
	.section	.AMDGPU.csdata,"",@progbits
; Kernel info:
; codeLenInByte = 6704
; NumSgprs: 32
; NumVgprs: 105
; NumAgprs: 0
; TotalNumVgprs: 105
; ScratchSize: 0
; MemoryBound: 0
; FloatMode: 240
; IeeeMode: 1
; LDSByteSize: 0 bytes/workgroup (compile time only)
; SGPRBlocks: 3
; VGPRBlocks: 13
; NumSGPRsForWavesPerEU: 32
; NumVGPRsForWavesPerEU: 105
; AccumOffset: 108
; Occupancy: 4
; WaveLimiterHint : 1
; COMPUTE_PGM_RSRC2:SCRATCH_EN: 0
; COMPUTE_PGM_RSRC2:USER_SGPR: 2
; COMPUTE_PGM_RSRC2:TRAP_HANDLER: 0
; COMPUTE_PGM_RSRC2:TGID_X_EN: 1
; COMPUTE_PGM_RSRC2:TGID_Y_EN: 0
; COMPUTE_PGM_RSRC2:TGID_Z_EN: 0
; COMPUTE_PGM_RSRC2:TIDIG_COMP_CNT: 0
; COMPUTE_PGM_RSRC3_GFX90A:ACCUM_OFFSET: 26
; COMPUTE_PGM_RSRC3_GFX90A:TG_SPLIT: 0
	.text
	.p2alignl 6, 3212836864
	.fill 256, 4, 3212836864
	.type	__hip_cuid_8f4bd29f1a864048,@object ; @__hip_cuid_8f4bd29f1a864048
	.section	.bss,"aw",@nobits
	.globl	__hip_cuid_8f4bd29f1a864048
__hip_cuid_8f4bd29f1a864048:
	.byte	0                               ; 0x0
	.size	__hip_cuid_8f4bd29f1a864048, 1

	.ident	"AMD clang version 19.0.0git (https://github.com/RadeonOpenCompute/llvm-project roc-6.4.0 25133 c7fe45cf4b819c5991fe208aaa96edf142730f1d)"
	.section	".note.GNU-stack","",@progbits
	.addrsig
	.addrsig_sym __hip_cuid_8f4bd29f1a864048
	.amdgpu_metadata
---
amdhsa.kernels:
  - .agpr_count:     0
    .args:
      - .actual_access:  read_only
        .address_space:  global
        .offset:         0
        .size:           8
        .value_kind:     global_buffer
      - .address_space:  global
        .offset:         8
        .size:           8
        .value_kind:     global_buffer
      - .actual_access:  read_only
        .address_space:  global
        .offset:         16
        .size:           8
        .value_kind:     global_buffer
      - .actual_access:  read_only
        .address_space:  global
        .offset:         24
        .size:           8
        .value_kind:     global_buffer
      - .offset:         32
        .size:           8
        .value_kind:     by_value
      - .actual_access:  read_only
        .address_space:  global
        .offset:         40
        .size:           8
        .value_kind:     global_buffer
      - .actual_access:  read_only
        .address_space:  global
        .offset:         48
        .size:           8
        .value_kind:     global_buffer
      - .offset:         56
        .size:           4
        .value_kind:     by_value
      - .actual_access:  read_only
        .address_space:  global
        .offset:         64
        .size:           8
        .value_kind:     global_buffer
      - .actual_access:  read_only
        .address_space:  global
        .offset:         72
        .size:           8
        .value_kind:     global_buffer
      - .address_space:  global
        .offset:         80
        .size:           8
        .value_kind:     global_buffer
    .group_segment_fixed_size: 0
    .kernarg_segment_align: 8
    .kernarg_segment_size: 88
    .language:       OpenCL C
    .language_version:
      - 2
      - 0
    .max_flat_workgroup_size: 256
    .name:           fft_rtc_fwd_len192_factors_4_3_16_wgs_256_tpt_16_dim3_sp_ip_CI_sbcc_twdbase8_2step_dirReg_intrinsicReadWrite
    .private_segment_fixed_size: 0
    .sgpr_count:     32
    .sgpr_spill_count: 0
    .symbol:         fft_rtc_fwd_len192_factors_4_3_16_wgs_256_tpt_16_dim3_sp_ip_CI_sbcc_twdbase8_2step_dirReg_intrinsicReadWrite.kd
    .uniform_work_group_size: 1
    .uses_dynamic_stack: false
    .vgpr_count:     105
    .vgpr_spill_count: 0
    .wavefront_size: 64
amdhsa.target:   amdgcn-amd-amdhsa--gfx950
amdhsa.version:
  - 1
  - 2
...

	.end_amdgpu_metadata
